;; amdgpu-corpus repo=ROCm/rocFFT kind=compiled arch=gfx906 opt=O3
	.text
	.amdgcn_target "amdgcn-amd-amdhsa--gfx906"
	.amdhsa_code_object_version 6
	.protected	bluestein_single_fwd_len1000_dim1_sp_op_CI_CI ; -- Begin function bluestein_single_fwd_len1000_dim1_sp_op_CI_CI
	.globl	bluestein_single_fwd_len1000_dim1_sp_op_CI_CI
	.p2align	8
	.type	bluestein_single_fwd_len1000_dim1_sp_op_CI_CI,@function
bluestein_single_fwd_len1000_dim1_sp_op_CI_CI: ; @bluestein_single_fwd_len1000_dim1_sp_op_CI_CI
; %bb.0:
	s_load_dwordx4 s[12:15], s[4:5], 0x28
	v_mul_u32_u24_e32 v1, 0x290, v0
	v_add_u32_sdwa v36, s6, v1 dst_sel:DWORD dst_unused:UNUSED_PAD src0_sel:DWORD src1_sel:WORD_1
	v_mov_b32_e32 v37, 0
	s_waitcnt lgkmcnt(0)
	v_cmp_gt_u64_e32 vcc, s[12:13], v[36:37]
	s_and_saveexec_b64 s[0:1], vcc
	s_cbranch_execz .LBB0_2
; %bb.1:
	s_load_dwordx4 s[0:3], s[4:5], 0x18
	s_load_dwordx4 s[8:11], s[4:5], 0x0
	s_movk_i32 s6, 0x1000
	s_waitcnt lgkmcnt(0)
	s_load_dwordx4 s[16:19], s[0:1], 0x0
	s_movk_i32 s0, 0x64
	v_mul_lo_u16_sdwa v1, v1, s0 dst_sel:DWORD dst_unused:UNUSED_PAD src0_sel:WORD_1 src1_sel:DWORD
	v_sub_u16_e32 v59, v0, v1
	v_lshlrev_b32_e32 v61, 3, v59
	s_waitcnt lgkmcnt(0)
	v_mad_u64_u32 v[0:1], s[0:1], s18, v36, 0
	v_mad_u64_u32 v[2:3], s[0:1], s16, v59, 0
	v_add_u32_e32 v64, 0x400, v61
	v_add_u32_e32 v63, 0x800, v61
	v_mad_u64_u32 v[4:5], s[0:1], s19, v36, v[1:2]
	v_add_u32_e32 v62, 0x1000, v61
	v_add_u32_e32 v60, 0x1800, v61
	v_mad_u64_u32 v[5:6], s[0:1], s17, v59, v[3:4]
	v_mov_b32_e32 v1, v4
	v_lshlrev_b64 v[0:1], 3, v[0:1]
	v_mov_b32_e32 v6, s15
	v_mov_b32_e32 v3, v5
	v_add_co_u32_e32 v4, vcc, s14, v0
	v_addc_co_u32_e32 v5, vcc, v6, v1, vcc
	v_lshlrev_b64 v[0:1], 3, v[2:3]
	s_mul_i32 s0, s17, 0x320
	v_add_co_u32_e32 v0, vcc, v4, v0
	v_addc_co_u32_e32 v1, vcc, v5, v1, vcc
	v_mov_b32_e32 v4, s9
	v_add_co_u32_e32 v66, vcc, s8, v61
	s_mul_hi_u32 s1, s16, 0x320
	v_addc_co_u32_e32 v67, vcc, 0, v4, vcc
	s_add_i32 s0, s1, s0
	s_mul_i32 s1, s16, 0x320
	global_load_dwordx2 v[2:3], v[0:1], off
	v_mov_b32_e32 v4, s0
	v_add_co_u32_e32 v0, vcc, s1, v0
	v_addc_co_u32_e32 v1, vcc, v1, v4, vcc
	v_mov_b32_e32 v5, s0
	v_add_co_u32_e32 v4, vcc, s1, v0
	v_addc_co_u32_e32 v5, vcc, v1, v5, vcc
	v_mov_b32_e32 v7, s0
	v_add_co_u32_e32 v6, vcc, s1, v4
	v_addc_co_u32_e32 v7, vcc, v5, v7, vcc
	v_mov_b32_e32 v9, s0
	v_add_co_u32_e32 v8, vcc, s1, v6
	v_addc_co_u32_e32 v9, vcc, v7, v9, vcc
	global_load_dwordx2 v[51:52], v61, s[8:9]
	global_load_dwordx2 v[49:50], v61, s[8:9] offset:800
	global_load_dwordx2 v[47:48], v61, s[8:9] offset:1600
	;; [unrolled: 1-line block ×3, first 2 shown]
	global_load_dwordx2 v[10:11], v[0:1], off
	global_load_dwordx2 v[12:13], v[4:5], off
	global_load_dwordx2 v[14:15], v[6:7], off
	global_load_dwordx2 v[16:17], v[8:9], off
	v_mov_b32_e32 v1, s0
	v_add_co_u32_e32 v0, vcc, s1, v8
	v_addc_co_u32_e32 v1, vcc, v9, v1, vcc
	global_load_dwordx2 v[4:5], v[0:1], off
	global_load_dwordx2 v[45:46], v61, s[8:9] offset:3200
	global_load_dwordx2 v[39:40], v61, s[8:9] offset:4000
	v_mov_b32_e32 v6, s0
	v_add_co_u32_e32 v0, vcc, s1, v0
	v_addc_co_u32_e32 v1, vcc, v1, v6, vcc
	v_add_co_u32_e32 v57, vcc, s6, v66
	v_addc_co_u32_e32 v58, vcc, 0, v67, vcc
	global_load_dwordx2 v[6:7], v[0:1], off
	v_mov_b32_e32 v8, s0
	v_add_co_u32_e32 v0, vcc, s1, v0
	v_addc_co_u32_e32 v1, vcc, v1, v8, vcc
	global_load_dwordx2 v[8:9], v[0:1], off
	global_load_dwordx2 v[41:42], v[57:58], off offset:704
	global_load_dwordx2 v[37:38], v[57:58], off offset:1504
	v_mov_b32_e32 v18, s0
	v_add_co_u32_e32 v0, vcc, s1, v0
	v_addc_co_u32_e32 v1, vcc, v1, v18, vcc
	global_load_dwordx2 v[18:19], v[0:1], off
	global_load_dwordx2 v[34:35], v[57:58], off offset:2304
	v_mov_b32_e32 v20, s0
	v_add_co_u32_e32 v0, vcc, s1, v0
	v_addc_co_u32_e32 v1, vcc, v1, v20, vcc
	global_load_dwordx2 v[20:21], v[0:1], off
	global_load_dwordx2 v[32:33], v[57:58], off offset:3104
	s_load_dwordx4 s[0:3], s[2:3], 0x0
	s_movk_i32 s6, 0xcd
	s_waitcnt vmcnt(18)
	v_mul_f32_e32 v0, v3, v52
	v_mul_f32_e32 v1, v2, v52
	v_fmac_f32_e32 v0, v2, v51
	v_fma_f32 v1, v3, v51, -v1
	s_waitcnt vmcnt(14)
	v_mul_f32_e32 v2, v11, v50
	v_mul_f32_e32 v3, v10, v50
	v_fmac_f32_e32 v2, v10, v49
	v_fma_f32 v3, v11, v49, -v3
	ds_write2_b64 v61, v[0:1], v[2:3] offset1:100
	s_waitcnt vmcnt(13)
	v_mul_f32_e32 v0, v13, v48
	v_mul_f32_e32 v1, v12, v48
	s_waitcnt vmcnt(12)
	v_mul_f32_e32 v2, v15, v44
	v_mul_f32_e32 v3, v14, v44
	v_fmac_f32_e32 v0, v12, v47
	v_fma_f32 v1, v13, v47, -v1
	v_fmac_f32_e32 v2, v14, v43
	v_fma_f32 v3, v15, v43, -v3
	ds_write2_b64 v64, v[0:1], v[2:3] offset0:72 offset1:172
	s_waitcnt vmcnt(9)
	v_mul_f32_e32 v0, v17, v46
	v_mul_f32_e32 v1, v16, v46
	s_waitcnt vmcnt(8)
	v_mul_f32_e32 v2, v5, v40
	v_mul_f32_e32 v3, v4, v40
	v_fmac_f32_e32 v0, v16, v45
	v_fma_f32 v1, v17, v45, -v1
	v_fmac_f32_e32 v2, v4, v39
	v_fma_f32 v3, v5, v39, -v3
	ds_write2_b64 v63, v[0:1], v[2:3] offset0:144 offset1:244
	;; [unrolled: 11-line block ×4, first 2 shown]
	s_waitcnt lgkmcnt(0)
	s_barrier
	ds_read2_b64 v[0:3], v61 offset1:100
	ds_read2_b64 v[4:7], v64 offset0:72 offset1:172
	ds_read2_b64 v[8:11], v63 offset0:144 offset1:244
	;; [unrolled: 1-line block ×3, first 2 shown]
	s_waitcnt lgkmcnt(2)
	v_add_f32_e32 v16, v0, v4
	s_waitcnt lgkmcnt(1)
	v_add_f32_e32 v20, v16, v8
	v_add_f32_e32 v16, v1, v5
	;; [unrolled: 1-line block ×5, first 2 shown]
	ds_read2_b64 v[16:19], v60 offset0:32 offset1:132
	s_waitcnt lgkmcnt(1)
	v_add_f32_e32 v21, v8, v12
	v_add_f32_e32 v20, v20, v12
	v_sub_f32_e32 v23, v4, v8
	v_sub_f32_e32 v24, v8, v4
	;; [unrolled: 1-line block ×3, first 2 shown]
	v_add_f32_e32 v8, v2, v6
	s_waitcnt lgkmcnt(0)
	v_add_f32_e32 v68, v4, v16
	v_sub_f32_e32 v69, v4, v16
	v_sub_f32_e32 v71, v16, v12
	;; [unrolled: 1-line block ×3, first 2 shown]
	v_add_f32_e32 v16, v20, v16
	v_fma_f32 v20, -0.5, v21, v0
	v_add_f32_e32 v8, v8, v10
	v_sub_f32_e32 v65, v5, v17
	v_mov_b32_e32 v21, v20
	v_sub_f32_e32 v22, v9, v13
	v_add_f32_e32 v8, v8, v14
	v_fmac_f32_e32 v21, 0x3f737871, v65
	v_fmac_f32_e32 v20, 0xbf737871, v65
	v_add_f32_e32 v30, v10, v14
	v_sub_f32_e32 v53, v6, v10
	v_sub_f32_e32 v54, v10, v6
	;; [unrolled: 1-line block ×3, first 2 shown]
	v_add_f32_e32 v70, v6, v18
	v_sub_f32_e32 v6, v6, v18
	v_add_f32_e32 v25, v25, v13
	v_sub_f32_e32 v73, v18, v14
	v_sub_f32_e32 v14, v14, v18
	v_add_f32_e32 v18, v8, v18
	v_add_f32_e32 v8, v23, v71
	v_fmac_f32_e32 v21, 0x3f167918, v22
	v_fmac_f32_e32 v20, 0xbf167918, v22
	v_fma_f32 v23, -0.5, v68, v0
	v_add_f32_e32 v26, v9, v13
	v_add_f32_e32 v4, v5, v17
	;; [unrolled: 1-line block ×3, first 2 shown]
	v_sub_f32_e32 v72, v17, v13
	v_sub_f32_e32 v13, v13, v17
	v_add_f32_e32 v17, v25, v17
	v_fmac_f32_e32 v21, 0x3e9e377a, v8
	v_fmac_f32_e32 v20, 0x3e9e377a, v8
	v_add_f32_e32 v8, v24, v12
	v_mov_b32_e32 v12, v23
	v_fma_f32 v25, -0.5, v70, v2
	v_sub_f32_e32 v28, v5, v9
	v_sub_f32_e32 v9, v9, v5
	;; [unrolled: 1-line block ×3, first 2 shown]
	v_add_f32_e32 v55, v11, v15
	v_sub_f32_e32 v56, v7, v11
	v_sub_f32_e32 v11, v11, v7
	;; [unrolled: 1-line block ×3, first 2 shown]
	v_add_f32_e32 v7, v7, v19
	v_sub_f32_e32 v74, v19, v15
	v_sub_f32_e32 v15, v15, v19
	v_add_f32_e32 v19, v29, v19
	v_fmac_f32_e32 v12, 0xbf737871, v22
	v_fmac_f32_e32 v23, 0x3f737871, v22
	v_fma_f32 v22, -0.5, v30, v2
	v_mov_b32_e32 v29, v25
	v_mov_b32_e32 v24, v22
	v_fmac_f32_e32 v29, 0xbf737871, v31
	v_fmac_f32_e32 v25, 0x3f737871, v31
	;; [unrolled: 1-line block ×6, first 2 shown]
	v_fma_f32 v5, -0.5, v55, v3
	v_add_f32_e32 v0, v53, v73
	v_fmac_f32_e32 v24, 0x3f167918, v31
	v_fmac_f32_e32 v22, 0xbf167918, v31
	v_mov_b32_e32 v30, v5
	v_fmac_f32_e32 v24, 0x3e9e377a, v0
	v_fmac_f32_e32 v22, 0x3e9e377a, v0
	v_add_f32_e32 v0, v54, v14
	v_fmac_f32_e32 v30, 0xbf737871, v6
	v_fmac_f32_e32 v5, 0x3f737871, v6
	v_fmac_f32_e32 v3, -0.5, v7
	v_fmac_f32_e32 v29, 0x3e9e377a, v0
	v_fmac_f32_e32 v25, 0x3e9e377a, v0
	v_add_f32_e32 v0, v56, v74
	v_fmac_f32_e32 v30, 0xbf167918, v10
	v_fmac_f32_e32 v5, 0x3f167918, v10
	v_mov_b32_e32 v7, v3
	v_fmac_f32_e32 v3, 0xbf737871, v10
	v_fmac_f32_e32 v30, 0x3e9e377a, v0
	;; [unrolled: 1-line block ×3, first 2 shown]
	v_add_f32_e32 v0, v11, v15
	v_fmac_f32_e32 v3, 0x3f167918, v6
	v_fmac_f32_e32 v7, 0x3f737871, v10
	v_fma_f32 v26, -0.5, v26, v1
	v_fma_f32 v31, -0.5, v4, v1
	v_fmac_f32_e32 v3, 0x3e9e377a, v0
	v_mul_f32_e32 v1, 0xbe9e377a, v25
	v_fmac_f32_e32 v23, 0xbf167918, v65
	v_fmac_f32_e32 v7, 0xbf167918, v6
	;; [unrolled: 1-line block ×3, first 2 shown]
	v_mul_f32_e32 v53, 0xbe9e377a, v3
	v_mul_f32_e32 v3, 0x3f4f1bbd, v24
	v_fmac_f32_e32 v12, 0x3f167918, v65
	v_fmac_f32_e32 v23, 0x3e9e377a, v8
	;; [unrolled: 1-line block ×5, first 2 shown]
	v_add_f32_e32 v0, v16, v18
	v_add_f32_e32 v2, v21, v3
	v_mul_f32_e32 v8, 0x3f737871, v7
	v_sub_f32_e32 v4, v21, v3
	v_add_f32_e32 v10, v23, v1
	v_mul_f32_e32 v3, 0xbf4f1bbd, v22
	v_sub_f32_e32 v14, v16, v18
	v_sub_f32_e32 v16, v23, v1
	v_add_f32_e32 v1, v17, v19
	v_sub_f32_e32 v15, v17, v19
	v_mov_b32_e32 v17, v26
	v_fmac_f32_e32 v8, 0x3e9e377a, v29
	v_fmac_f32_e32 v3, 0x3f167918, v5
	;; [unrolled: 1-line block ×4, first 2 shown]
	v_mov_b32_e32 v19, v31
	v_sub_f32_e32 v6, v12, v8
	v_add_f32_e32 v8, v12, v8
	v_add_f32_e32 v12, v20, v3
	v_sub_f32_e32 v18, v20, v3
	v_add_f32_e32 v3, v28, v72
	v_fmac_f32_e32 v17, 0xbf167918, v27
	v_fmac_f32_e32 v26, 0x3f167918, v27
	v_fmac_f32_e32 v19, 0x3f737871, v27
	v_fmac_f32_e32 v31, 0xbf737871, v27
	v_mul_f32_e32 v20, 0xbf167918, v24
	v_fmac_f32_e32 v17, 0x3e9e377a, v3
	v_fmac_f32_e32 v26, 0x3e9e377a, v3
	v_add_f32_e32 v3, v9, v13
	v_fmac_f32_e32 v19, 0xbf167918, v69
	v_fmac_f32_e32 v31, 0x3f167918, v69
	v_fmac_f32_e32 v20, 0x3f4f1bbd, v30
	v_fmac_f32_e32 v19, 0x3e9e377a, v3
	v_fmac_f32_e32 v31, 0x3e9e377a, v3
	v_mul_f32_e32 v21, 0xbf737871, v29
	v_mul_f32_e32 v23, 0xbf4f1bbd, v5
	v_add_f32_e32 v3, v17, v20
	v_sub_f32_e32 v5, v17, v20
	v_mul_lo_u16_e32 v20, 10, v59
	v_fmac_f32_e32 v21, 0x3e9e377a, v7
	v_fmac_f32_e32 v53, 0xbf737871, v25
	;; [unrolled: 1-line block ×3, first 2 shown]
	v_lshlrev_b32_e32 v68, 3, v20
	v_add_f32_e32 v9, v19, v21
	v_add_f32_e32 v11, v31, v53
	;; [unrolled: 1-line block ×3, first 2 shown]
	v_sub_f32_e32 v7, v19, v21
	v_sub_f32_e32 v17, v31, v53
	;; [unrolled: 1-line block ×3, first 2 shown]
	s_barrier
	ds_write_b128 v68, v[0:3]
	ds_write_b128 v68, v[8:11] offset:16
	ds_write_b128 v68, v[12:15] offset:32
	;; [unrolled: 1-line block ×4, first 2 shown]
	v_mul_lo_u16_sdwa v0, v59, s6 dst_sel:DWORD dst_unused:UNUSED_PAD src0_sel:BYTE_0 src1_sel:DWORD
	v_lshrrev_b16_e32 v26, 11, v0
	v_mul_lo_u16_e32 v0, 10, v26
	v_sub_u16_e32 v0, v59, v0
	v_mov_b32_e32 v25, s11
	v_and_b32_e32 v27, 0xff, v0
	s_movk_i32 s6, 0x48
	v_mov_b32_e32 v24, s10
	v_mad_u64_u32 v[16:17], s[8:9], v27, s6, v[24:25]
	s_waitcnt lgkmcnt(0)
	s_barrier
	global_load_dwordx4 v[0:3], v[16:17], off
	global_load_dwordx4 v[4:7], v[16:17], off offset:16
	global_load_dwordx4 v[8:11], v[16:17], off offset:32
	;; [unrolled: 1-line block ×3, first 2 shown]
	global_load_dwordx2 v[53:54], v[16:17], off offset:64
	ds_read2_b64 v[16:19], v64 offset0:72 offset1:172
	ds_read2_b64 v[20:23], v63 offset0:144 offset1:244
	s_waitcnt vmcnt(4) lgkmcnt(1)
	v_mul_f32_e32 v28, v17, v3
	v_fma_f32 v28, v16, v2, -v28
	v_mul_f32_e32 v29, v16, v3
	s_waitcnt vmcnt(3)
	v_mul_f32_e32 v16, v19, v5
	v_fma_f32 v30, v18, v4, -v16
	v_mul_f32_e32 v31, v18, v5
	s_waitcnt lgkmcnt(0)
	v_mul_f32_e32 v16, v21, v7
	v_fmac_f32_e32 v29, v17, v2
	v_fmac_f32_e32 v31, v19, v4
	v_fma_f32 v55, v20, v6, -v16
	ds_read2_b64 v[16:19], v62 offset0:88 offset1:188
	v_mul_f32_e32 v56, v20, v7
	s_waitcnt vmcnt(2)
	v_mul_f32_e32 v20, v23, v9
	v_fma_f32 v69, v22, v8, -v20
	v_mul_f32_e32 v70, v22, v9
	s_waitcnt lgkmcnt(0)
	v_mul_f32_e32 v20, v17, v11
	v_fmac_f32_e32 v56, v21, v6
	v_fmac_f32_e32 v70, v23, v8
	v_fma_f32 v71, v16, v10, -v20
	ds_read2_b64 v[20:23], v60 offset0:32 offset1:132
	v_mul_f32_e32 v72, v16, v11
	s_waitcnt vmcnt(1)
	v_mul_f32_e32 v16, v19, v13
	v_fma_f32 v73, v18, v12, -v16
	v_mul_f32_e32 v74, v18, v13
	s_waitcnt lgkmcnt(0)
	v_mul_f32_e32 v16, v21, v15
	v_fmac_f32_e32 v72, v17, v10
	v_fmac_f32_e32 v74, v19, v12
	v_fma_f32 v75, v20, v14, -v16
	ds_read2_b64 v[16:19], v61 offset1:100
	v_mul_f32_e32 v20, v20, v15
	v_fmac_f32_e32 v20, v21, v14
	s_waitcnt vmcnt(0)
	v_mul_f32_e32 v21, v23, v54
	v_fma_f32 v21, v22, v53, -v21
	v_mul_f32_e32 v22, v22, v54
	v_fmac_f32_e32 v22, v23, v53
	s_waitcnt lgkmcnt(0)
	v_mul_f32_e32 v23, v19, v1
	v_fma_f32 v23, v18, v0, -v23
	v_mul_f32_e32 v76, v18, v1
	v_add_f32_e32 v18, v55, v71
	v_fma_f32 v77, -0.5, v18, v16
	v_add_f32_e32 v18, v28, v75
	v_fma_f32 v78, -0.5, v18, v16
	;; [unrolled: 2-line block ×3, first 2 shown]
	v_add_f32_e32 v18, v29, v20
	v_fmac_f32_e32 v76, v19, v0
	v_fma_f32 v80, -0.5, v18, v17
	v_sub_f32_e32 v18, v28, v55
	v_sub_f32_e32 v19, v75, v71
	v_add_f32_e32 v81, v18, v19
	v_sub_f32_e32 v18, v29, v56
	v_sub_f32_e32 v19, v20, v72
	v_add_f32_e32 v82, v18, v19
	;; [unrolled: 3-line block ×4, first 2 shown]
	v_add_f32_e32 v19, v70, v74
	v_add_f32_e32 v18, v69, v73
	v_fma_f32 v88, -0.5, v19, v76
	v_fma_f32 v85, -0.5, v18, v23
	v_sub_f32_e32 v89, v30, v21
	v_mov_b32_e32 v19, v88
	v_sub_f32_e32 v86, v31, v22
	v_mov_b32_e32 v18, v85
	v_fmac_f32_e32 v19, 0xbf737871, v89
	v_sub_f32_e32 v90, v69, v73
	v_add_f32_e32 v16, v16, v28
	v_fmac_f32_e32 v18, 0x3f737871, v86
	v_sub_f32_e32 v87, v70, v74
	v_fmac_f32_e32 v19, 0xbf167918, v90
	v_fmac_f32_e32 v18, 0x3f167918, v87
	;; [unrolled: 1-line block ×3, first 2 shown]
	v_add_f32_e32 v16, v16, v55
	v_add_f32_e32 v17, v17, v29
	v_fmac_f32_e32 v18, 0x3e9e377a, v83
	v_mul_f32_e32 v91, 0x3f167918, v19
	v_add_f32_e32 v16, v16, v71
	v_fmac_f32_e32 v91, 0x3f4f1bbd, v18
	v_mul_f32_e32 v92, 0xbf167918, v18
	v_mul_u32_u24_e32 v18, 0x64, v26
	v_add_f32_e32 v26, v16, v75
	v_add_f32_e32 v16, v17, v56
	;; [unrolled: 1-line block ×7, first 2 shown]
	v_add_lshl_u32 v65, v18, v27, 3
	v_sub_f32_e32 v27, v29, v20
	v_mov_b32_e32 v93, v77
	v_sub_f32_e32 v96, v28, v75
	v_mov_b32_e32 v97, v79
	v_add_f32_e32 v99, v16, v21
	v_add_f32_e32 v16, v76, v31
	v_fmac_f32_e32 v93, 0x3f737871, v27
	v_sub_f32_e32 v94, v56, v72
	v_fmac_f32_e32 v97, 0xbf737871, v96
	v_sub_f32_e32 v98, v55, v71
	v_add_f32_e32 v16, v16, v70
	v_fmac_f32_e32 v93, 0x3f167918, v94
	v_fmac_f32_e32 v97, 0xbf167918, v98
	v_add_f32_e32 v16, v16, v74
	v_fmac_f32_e32 v92, 0x3f4f1bbd, v19
	v_fmac_f32_e32 v93, 0x3e9e377a, v81
	;; [unrolled: 1-line block ×3, first 2 shown]
	v_add_f32_e32 v100, v16, v22
	v_add_f32_e32 v16, v26, v99
	;; [unrolled: 1-line block ×5, first 2 shown]
	s_barrier
	ds_write2_b64 v65, v[16:17], v[18:19] offset1:10
	v_sub_f32_e32 v16, v55, v28
	v_mov_b32_e32 v28, v78
	v_sub_f32_e32 v17, v71, v75
	v_fmac_f32_e32 v28, 0xbf737871, v94
	v_fmac_f32_e32 v78, 0x3f737871, v94
	v_add_f32_e32 v16, v16, v17
	v_fmac_f32_e32 v28, 0x3f167918, v27
	v_fmac_f32_e32 v78, 0xbf167918, v27
	v_sub_f32_e32 v17, v72, v20
	v_mov_b32_e32 v20, v80
	v_fmac_f32_e32 v28, 0x3e9e377a, v16
	v_fmac_f32_e32 v78, 0x3e9e377a, v16
	v_sub_f32_e32 v16, v56, v29
	v_fmac_f32_e32 v20, 0x3f737871, v98
	v_fmac_f32_e32 v80, 0xbf737871, v98
	v_add_f32_e32 v16, v16, v17
	v_fmac_f32_e32 v20, 0xbf167918, v96
	v_fmac_f32_e32 v80, 0x3f167918, v96
	;; [unrolled: 1-line block ×4, first 2 shown]
	v_add_f32_e32 v16, v30, v21
	v_fmac_f32_e32 v23, -0.5, v16
	v_sub_f32_e32 v16, v69, v30
	v_sub_f32_e32 v17, v73, v21
	v_add_f32_e32 v16, v16, v17
	v_mov_b32_e32 v17, v23
	v_fmac_f32_e32 v17, 0xbf737871, v87
	v_fmac_f32_e32 v23, 0x3f737871, v87
	;; [unrolled: 1-line block ×6, first 2 shown]
	v_add_f32_e32 v16, v31, v22
	v_fmac_f32_e32 v76, -0.5, v16
	v_sub_f32_e32 v16, v70, v31
	v_sub_f32_e32 v18, v74, v22
	v_add_f32_e32 v16, v16, v18
	v_mov_b32_e32 v18, v76
	v_fmac_f32_e32 v18, 0x3f737871, v90
	v_fmac_f32_e32 v76, 0xbf737871, v90
	;; [unrolled: 1-line block ×6, first 2 shown]
	v_mul_f32_e32 v21, 0x3f737871, v18
	v_mul_f32_e32 v22, 0xbf737871, v17
	;; [unrolled: 1-line block ×4, first 2 shown]
	v_fmac_f32_e32 v85, 0xbf737871, v86
	v_fmac_f32_e32 v88, 0x3f737871, v89
	v_fmac_f32_e32 v21, 0x3e9e377a, v17
	v_fmac_f32_e32 v22, 0x3e9e377a, v18
	v_fmac_f32_e32 v29, 0x3f737871, v76
	v_fmac_f32_e32 v30, 0xbf737871, v23
	v_fmac_f32_e32 v85, 0xbf167918, v87
	v_fmac_f32_e32 v88, 0x3f167918, v90
	v_add_f32_e32 v16, v28, v21
	v_add_f32_e32 v17, v20, v22
	;; [unrolled: 1-line block ×4, first 2 shown]
	v_fmac_f32_e32 v77, 0xbf737871, v27
	v_fmac_f32_e32 v79, 0x3f737871, v96
	v_fmac_f32_e32 v85, 0x3e9e377a, v83
	v_fmac_f32_e32 v88, 0x3e9e377a, v84
	ds_write2_b64 v65, v[16:17], v[18:19] offset0:20 offset1:30
	v_sub_f32_e32 v16, v26, v99
	v_fmac_f32_e32 v77, 0xbf167918, v94
	v_fmac_f32_e32 v79, 0x3f167918, v98
	v_mul_f32_e32 v23, 0xbf4f1bbd, v85
	v_mul_f32_e32 v26, 0xbf4f1bbd, v88
	v_fmac_f32_e32 v77, 0x3e9e377a, v81
	v_fmac_f32_e32 v79, 0x3e9e377a, v82
	;; [unrolled: 1-line block ×4, first 2 shown]
	v_mad_u64_u32 v[69:70], s[6:7], v59, s6, v[24:25]
	v_sub_f32_e32 v17, v95, v100
	v_add_f32_e32 v18, v77, v23
	v_add_f32_e32 v19, v79, v26
	ds_write2_b64 v65, v[18:19], v[16:17] offset0:40 offset1:50
	v_sub_f32_e32 v16, v93, v91
	v_sub_f32_e32 v17, v97, v92
	;; [unrolled: 1-line block ×4, first 2 shown]
	ds_write2_b64 v65, v[16:17], v[18:19] offset0:60 offset1:70
	v_sub_f32_e32 v16, v78, v29
	v_sub_f32_e32 v17, v80, v30
	;; [unrolled: 1-line block ×4, first 2 shown]
	ds_write2_b64 v65, v[16:17], v[18:19] offset0:80 offset1:90
	s_waitcnt lgkmcnt(0)
	s_barrier
	global_load_dwordx4 v[16:19], v[69:70], off offset:720
	global_load_dwordx4 v[20:23], v[69:70], off offset:736
	;; [unrolled: 1-line block ×4, first 2 shown]
	global_load_dwordx2 v[55:56], v[69:70], off offset:784
	ds_read2_b64 v[69:72], v64 offset0:72 offset1:172
	s_movk_i32 s6, 0x1f40
	s_waitcnt vmcnt(4) lgkmcnt(0)
	v_mul_f32_e32 v73, v70, v19
	v_fma_f32 v77, v69, v18, -v73
	ds_read2_b64 v[73:76], v63 offset0:144 offset1:244
	v_mul_f32_e32 v78, v69, v19
	s_waitcnt vmcnt(3)
	v_mul_f32_e32 v69, v72, v21
	v_fma_f32 v79, v71, v20, -v69
	v_mul_f32_e32 v80, v71, v21
	s_waitcnt lgkmcnt(0)
	v_mul_f32_e32 v69, v74, v23
	v_fmac_f32_e32 v78, v70, v18
	v_fmac_f32_e32 v80, v72, v20
	v_fma_f32 v81, v73, v22, -v69
	ds_read2_b64 v[69:72], v62 offset0:88 offset1:188
	v_mul_f32_e32 v82, v73, v23
	s_waitcnt vmcnt(2)
	v_mul_f32_e32 v73, v76, v29
	v_fma_f32 v83, v75, v28, -v73
	v_mul_f32_e32 v84, v75, v29
	s_waitcnt lgkmcnt(0)
	v_mul_f32_e32 v73, v70, v31
	v_fmac_f32_e32 v82, v74, v22
	v_fmac_f32_e32 v84, v76, v28
	;; [unrolled: 11-line block ×3, first 2 shown]
	v_fma_f32 v89, v73, v26, -v69
	ds_read2_b64 v[69:72], v61 offset1:100
	v_mul_f32_e32 v73, v73, v27
	v_fmac_f32_e32 v73, v74, v26
	s_waitcnt vmcnt(0)
	v_mul_f32_e32 v74, v76, v56
	v_fma_f32 v74, v75, v55, -v74
	v_mul_f32_e32 v75, v75, v56
	v_fmac_f32_e32 v75, v76, v55
	s_waitcnt lgkmcnt(0)
	v_mul_f32_e32 v76, v72, v17
	v_fma_f32 v76, v71, v16, -v76
	v_mul_f32_e32 v90, v71, v17
	v_add_f32_e32 v71, v81, v85
	v_fma_f32 v91, -0.5, v71, v69
	v_add_f32_e32 v71, v77, v89
	v_fma_f32 v92, -0.5, v71, v69
	;; [unrolled: 2-line block ×3, first 2 shown]
	v_add_f32_e32 v71, v78, v73
	v_fmac_f32_e32 v90, v72, v16
	v_fma_f32 v94, -0.5, v71, v70
	v_add_f32_e32 v69, v69, v77
	v_sub_f32_e32 v71, v77, v81
	v_sub_f32_e32 v72, v89, v85
	v_add_f32_e32 v95, v71, v72
	v_sub_f32_e32 v71, v78, v82
	v_sub_f32_e32 v72, v73, v86
	v_add_f32_e32 v69, v69, v81
	v_add_f32_e32 v70, v70, v78
	v_add_f32_e32 v96, v71, v72
	v_sub_f32_e32 v71, v79, v83
	v_sub_f32_e32 v72, v74, v87
	v_add_f32_e32 v69, v69, v85
	v_add_f32_e32 v97, v71, v72
	v_sub_f32_e32 v71, v80, v84
	v_sub_f32_e32 v72, v75, v88
	v_add_f32_e32 v107, v69, v89
	v_add_f32_e32 v69, v70, v82
	;; [unrolled: 1-line block ×6, first 2 shown]
	v_fma_f32 v99, -0.5, v71, v76
	v_fma_f32 v102, -0.5, v72, v90
	v_add_f32_e32 v111, v69, v73
	v_add_f32_e32 v69, v76, v79
	v_sub_f32_e32 v100, v80, v75
	v_mov_b32_e32 v71, v99
	v_sub_f32_e32 v103, v79, v74
	v_mov_b32_e32 v72, v102
	v_add_f32_e32 v69, v69, v83
	v_fmac_f32_e32 v71, 0x3f737871, v100
	v_sub_f32_e32 v101, v84, v88
	v_fmac_f32_e32 v72, 0xbf737871, v103
	v_sub_f32_e32 v104, v83, v87
	v_add_f32_e32 v69, v69, v87
	v_fmac_f32_e32 v71, 0x3f167918, v101
	v_fmac_f32_e32 v72, 0xbf167918, v104
	v_sub_f32_e32 v108, v78, v73
	v_mov_b32_e32 v109, v91
	v_sub_f32_e32 v112, v77, v89
	v_mov_b32_e32 v113, v93
	v_add_f32_e32 v115, v69, v74
	v_add_f32_e32 v69, v90, v80
	v_fmac_f32_e32 v71, 0x3e9e377a, v97
	v_fmac_f32_e32 v72, 0x3e9e377a, v98
	v_fmac_f32_e32 v109, 0x3f737871, v108
	v_sub_f32_e32 v110, v82, v86
	v_fmac_f32_e32 v113, 0xbf737871, v112
	v_sub_f32_e32 v114, v81, v85
	v_add_f32_e32 v69, v69, v84
	v_mul_f32_e32 v105, 0x3f167918, v72
	v_mul_f32_e32 v106, 0xbf167918, v71
	v_fmac_f32_e32 v109, 0x3f167918, v110
	v_fmac_f32_e32 v113, 0xbf167918, v114
	v_add_f32_e32 v69, v69, v88
	v_fmac_f32_e32 v105, 0x3f4f1bbd, v71
	v_fmac_f32_e32 v106, 0x3f4f1bbd, v72
	;; [unrolled: 1-line block ×4, first 2 shown]
	v_add_f32_e32 v116, v69, v75
	v_add_f32_e32 v69, v107, v115
	;; [unrolled: 1-line block ×5, first 2 shown]
	ds_write2_b64 v61, v[69:70], v[71:72] offset1:100
	v_sub_f32_e32 v69, v81, v77
	v_mov_b32_e32 v77, v92
	v_sub_f32_e32 v70, v85, v89
	v_fmac_f32_e32 v77, 0xbf737871, v110
	v_fmac_f32_e32 v92, 0x3f737871, v110
	v_add_f32_e32 v69, v69, v70
	v_fmac_f32_e32 v77, 0x3f167918, v108
	v_fmac_f32_e32 v92, 0xbf167918, v108
	v_sub_f32_e32 v70, v86, v73
	v_mov_b32_e32 v73, v94
	v_fmac_f32_e32 v77, 0x3e9e377a, v69
	v_fmac_f32_e32 v92, 0x3e9e377a, v69
	v_sub_f32_e32 v69, v82, v78
	v_fmac_f32_e32 v73, 0x3f737871, v114
	v_fmac_f32_e32 v94, 0xbf737871, v114
	v_add_f32_e32 v69, v69, v70
	v_fmac_f32_e32 v73, 0xbf167918, v112
	v_fmac_f32_e32 v94, 0x3f167918, v112
	;; [unrolled: 1-line block ×4, first 2 shown]
	v_add_f32_e32 v69, v79, v74
	v_fmac_f32_e32 v76, -0.5, v69
	v_sub_f32_e32 v69, v83, v79
	v_sub_f32_e32 v70, v87, v74
	v_add_f32_e32 v69, v69, v70
	v_mov_b32_e32 v70, v76
	v_fmac_f32_e32 v70, 0xbf737871, v101
	v_fmac_f32_e32 v76, 0x3f737871, v101
	;; [unrolled: 1-line block ×6, first 2 shown]
	v_add_f32_e32 v69, v80, v75
	v_fmac_f32_e32 v90, -0.5, v69
	v_sub_f32_e32 v69, v84, v80
	v_sub_f32_e32 v71, v88, v75
	v_add_f32_e32 v69, v69, v71
	v_mov_b32_e32 v71, v90
	v_fmac_f32_e32 v71, 0x3f737871, v104
	v_fmac_f32_e32 v90, 0xbf737871, v104
	;; [unrolled: 1-line block ×10, first 2 shown]
	v_mul_f32_e32 v74, 0x3f737871, v71
	v_mul_f32_e32 v75, 0xbf737871, v70
	;; [unrolled: 1-line block ×4, first 2 shown]
	v_fmac_f32_e32 v91, 0xbf737871, v108
	v_fmac_f32_e32 v93, 0x3f737871, v112
	;; [unrolled: 1-line block ×10, first 2 shown]
	v_mul_f32_e32 v76, 0xbf4f1bbd, v99
	v_mul_f32_e32 v80, 0xbf4f1bbd, v102
	v_add_f32_e32 v69, v77, v74
	v_add_f32_e32 v70, v73, v75
	;; [unrolled: 1-line block ×4, first 2 shown]
	v_fmac_f32_e32 v91, 0x3e9e377a, v95
	v_fmac_f32_e32 v93, 0x3e9e377a, v96
	;; [unrolled: 1-line block ×4, first 2 shown]
	ds_write2_b64 v64, v[69:70], v[71:72] offset0:72 offset1:172
	v_sub_f32_e32 v69, v107, v115
	v_sub_f32_e32 v70, v111, v116
	v_add_f32_e32 v71, v91, v76
	v_add_f32_e32 v72, v93, v80
	ds_write2_b64 v63, v[71:72], v[69:70] offset0:144 offset1:244
	v_sub_f32_e32 v69, v109, v105
	v_sub_f32_e32 v70, v113, v106
	;; [unrolled: 1-line block ×4, first 2 shown]
	ds_write2_b64 v62, v[69:70], v[71:72] offset0:88 offset1:188
	v_sub_f32_e32 v69, v92, v78
	v_sub_f32_e32 v70, v94, v79
	;; [unrolled: 1-line block ×4, first 2 shown]
	ds_write2_b64 v60, v[69:70], v[71:72] offset0:32 offset1:132
	s_waitcnt lgkmcnt(0)
	s_barrier
	global_load_dwordx2 v[57:58], v[57:58], off offset:3904
	v_add_co_u32_e32 v69, vcc, s6, v66
	v_addc_co_u32_e32 v70, vcc, 0, v67, vcc
	global_load_dwordx2 v[73:74], v[69:70], off offset:800
	global_load_dwordx2 v[75:76], v[69:70], off offset:1600
	;; [unrolled: 1-line block ×5, first 2 shown]
	s_movk_i32 s6, 0x3000
	v_add_co_u32_e32 v66, vcc, s6, v66
	v_addc_co_u32_e32 v67, vcc, 0, v67, vcc
	global_load_dwordx2 v[83:84], v[66:67], off offset:512
	global_load_dwordx2 v[85:86], v[66:67], off offset:1312
	;; [unrolled: 1-line block ×4, first 2 shown]
	ds_read2_b64 v[69:72], v61 offset1:100
	s_waitcnt vmcnt(9) lgkmcnt(0)
	v_mul_f32_e32 v66, v70, v58
	v_mul_f32_e32 v67, v69, v58
	v_fma_f32 v66, v69, v57, -v66
	v_fmac_f32_e32 v67, v70, v57
	s_waitcnt vmcnt(8)
	v_mul_f32_e32 v57, v72, v74
	v_mul_f32_e32 v58, v71, v74
	v_fma_f32 v57, v71, v73, -v57
	v_fmac_f32_e32 v58, v72, v73
	ds_write2_b64 v61, v[66:67], v[57:58] offset1:100
	ds_read2_b64 v[69:72], v64 offset0:72 offset1:172
	s_waitcnt vmcnt(7) lgkmcnt(0)
	v_mul_f32_e32 v57, v70, v76
	v_mul_f32_e32 v58, v69, v76
	v_fma_f32 v57, v69, v75, -v57
	v_fmac_f32_e32 v58, v70, v75
	ds_read2_b64 v[73:76], v63 offset0:144 offset1:244
	s_waitcnt vmcnt(6)
	v_mul_f32_e32 v66, v72, v78
	v_mul_f32_e32 v67, v71, v78
	v_fma_f32 v66, v71, v77, -v66
	v_fmac_f32_e32 v67, v72, v77
	s_waitcnt vmcnt(5) lgkmcnt(0)
	v_mul_f32_e32 v69, v74, v80
	v_fma_f32 v77, v73, v79, -v69
	ds_read2_b64 v[69:72], v62 offset0:88 offset1:188
	v_mul_f32_e32 v78, v73, v80
	s_waitcnt vmcnt(4)
	v_mul_f32_e32 v73, v76, v82
	v_fmac_f32_e32 v78, v74, v79
	v_fma_f32 v79, v75, v81, -v73
	v_mul_f32_e32 v80, v75, v82
	s_waitcnt vmcnt(3) lgkmcnt(0)
	v_mul_f32_e32 v73, v70, v84
	v_fmac_f32_e32 v80, v76, v81
	v_fma_f32 v81, v69, v83, -v73
	ds_read2_b64 v[73:76], v60 offset0:32 offset1:132
	v_mul_f32_e32 v82, v69, v84
	v_fmac_f32_e32 v82, v70, v83
	s_waitcnt vmcnt(2)
	v_mul_f32_e32 v69, v72, v86
	v_mul_f32_e32 v70, v71, v86
	v_fma_f32 v69, v71, v85, -v69
	v_fmac_f32_e32 v70, v72, v85
	s_waitcnt vmcnt(1) lgkmcnt(0)
	v_mul_f32_e32 v71, v74, v88
	v_mul_f32_e32 v72, v73, v88
	v_fma_f32 v71, v73, v87, -v71
	v_fmac_f32_e32 v72, v74, v87
	s_waitcnt vmcnt(0)
	v_mul_f32_e32 v73, v76, v90
	v_mul_f32_e32 v74, v75, v90
	v_fma_f32 v73, v75, v89, -v73
	v_fmac_f32_e32 v74, v76, v89
	ds_write2_b64 v64, v[57:58], v[66:67] offset0:72 offset1:172
	ds_write2_b64 v63, v[77:78], v[79:80] offset0:144 offset1:244
	;; [unrolled: 1-line block ×4, first 2 shown]
	s_waitcnt lgkmcnt(0)
	s_barrier
	ds_read2_b64 v[69:72], v61 offset1:100
	ds_read2_b64 v[73:76], v64 offset0:72 offset1:172
	ds_read2_b64 v[77:80], v63 offset0:144 offset1:244
	;; [unrolled: 1-line block ×4, first 2 shown]
	s_waitcnt lgkmcnt(0)
	v_add_f32_e32 v57, v69, v73
	v_add_f32_e32 v58, v70, v74
	;; [unrolled: 1-line block ×4, first 2 shown]
	v_sub_f32_e32 v90, v78, v82
	v_sub_f32_e32 v91, v73, v77
	;; [unrolled: 1-line block ×3, first 2 shown]
	v_add_f32_e32 v93, v78, v82
	v_sub_f32_e32 v94, v74, v78
	v_sub_f32_e32 v78, v78, v74
	v_add_f32_e32 v95, v79, v83
	v_add_f32_e32 v99, v80, v84
	v_sub_f32_e32 v101, v74, v86
	v_add_f32_e32 v102, v73, v85
	v_sub_f32_e32 v103, v73, v85
	v_add_f32_e32 v104, v74, v86
	v_add_f32_e32 v57, v57, v81
	;; [unrolled: 1-line block ×3, first 2 shown]
	v_sub_f32_e32 v73, v85, v81
	v_sub_f32_e32 v74, v86, v82
	v_add_f32_e32 v66, v71, v75
	v_add_f32_e32 v67, v72, v76
	v_add_f32_e32 v89, v77, v81
	v_sub_f32_e32 v77, v77, v81
	v_sub_f32_e32 v81, v81, v85
	;; [unrolled: 1-line block ×3, first 2 shown]
	v_add_f32_e32 v57, v57, v85
	v_add_f32_e32 v58, v58, v86
	;; [unrolled: 1-line block ×4, first 2 shown]
	v_fma_f32 v91, -0.5, v95, v71
	v_fma_f32 v94, -0.5, v99, v72
	v_add_f32_e32 v66, v66, v79
	v_add_f32_e32 v67, v67, v80
	v_sub_f32_e32 v105, v76, v88
	v_sub_f32_e32 v107, v75, v87
	v_mov_b32_e32 v73, v91
	v_mov_b32_e32 v74, v94
	v_sub_f32_e32 v96, v80, v84
	v_sub_f32_e32 v97, v75, v79
	v_sub_f32_e32 v98, v79, v75
	v_sub_f32_e32 v79, v79, v83
	v_sub_f32_e32 v100, v76, v80
	v_sub_f32_e32 v80, v80, v76
	v_add_f32_e32 v106, v75, v87
	v_add_f32_e32 v108, v76, v88
	;; [unrolled: 1-line block ×4, first 2 shown]
	v_sub_f32_e32 v75, v87, v83
	v_sub_f32_e32 v76, v88, v84
	v_fmac_f32_e32 v73, 0xbf737871, v105
	v_fmac_f32_e32 v74, 0x3f737871, v107
	v_fma_f32 v89, -0.5, v89, v69
	v_fma_f32 v93, -0.5, v93, v70
	v_sub_f32_e32 v83, v83, v87
	v_sub_f32_e32 v84, v84, v88
	v_add_f32_e32 v66, v66, v87
	v_add_f32_e32 v67, v67, v88
	;; [unrolled: 1-line block ×4, first 2 shown]
	v_fmac_f32_e32 v73, 0xbf167918, v96
	v_fmac_f32_e32 v74, 0x3f167918, v79
	v_mov_b32_e32 v99, v89
	v_mov_b32_e32 v100, v93
	v_fmac_f32_e32 v73, 0x3e9e377a, v87
	v_fmac_f32_e32 v74, 0x3e9e377a, v88
	;; [unrolled: 1-line block ×4, first 2 shown]
	v_mul_f32_e32 v95, 0xbf167918, v74
	v_mul_f32_e32 v97, 0x3f167918, v73
	v_fmac_f32_e32 v99, 0xbf167918, v90
	v_fmac_f32_e32 v100, 0x3f167918, v77
	;; [unrolled: 1-line block ×6, first 2 shown]
	v_add_f32_e32 v73, v57, v66
	v_add_f32_e32 v75, v99, v95
	;; [unrolled: 1-line block ×4, first 2 shown]
	s_barrier
	ds_write_b128 v68, v[73:76]
	v_fma_f32 v74, -0.5, v102, v69
	v_fmac_f32_e32 v72, -0.5, v108
	v_fma_f32 v69, -0.5, v106, v71
	v_add_f32_e32 v71, v92, v81
	v_mov_b32_e32 v81, v74
	v_fma_f32 v75, -0.5, v104, v70
	v_mov_b32_e32 v70, v72
	v_fmac_f32_e32 v72, 0x3f737871, v79
	v_fmac_f32_e32 v81, 0x3f737871, v90
	;; [unrolled: 1-line block ×3, first 2 shown]
	v_add_f32_e32 v73, v80, v84
	v_fmac_f32_e32 v72, 0xbf167918, v107
	v_fmac_f32_e32 v81, 0xbf167918, v101
	;; [unrolled: 1-line block ×6, first 2 shown]
	v_add_f32_e32 v71, v78, v82
	v_mov_b32_e32 v78, v75
	v_mul_f32_e32 v76, 0xbf737871, v72
	v_mul_f32_e32 v80, 0xbe9e377a, v72
	v_fmac_f32_e32 v78, 0xbf737871, v77
	v_fmac_f32_e32 v75, 0x3f737871, v77
	v_mov_b32_e32 v72, v69
	v_fmac_f32_e32 v70, 0xbf737871, v79
	v_fmac_f32_e32 v78, 0x3f167918, v103
	;; [unrolled: 1-line block ×8, first 2 shown]
	v_add_f32_e32 v71, v98, v83
	v_fmac_f32_e32 v72, 0xbf167918, v105
	v_fmac_f32_e32 v69, 0x3f167918, v105
	;; [unrolled: 1-line block ×5, first 2 shown]
	v_mul_f32_e32 v73, 0xbf737871, v70
	v_mul_f32_e32 v82, 0x3e9e377a, v70
	v_fmac_f32_e32 v94, 0xbf737871, v107
	v_fmac_f32_e32 v73, 0x3e9e377a, v72
	;; [unrolled: 1-line block ×7, first 2 shown]
	v_add_f32_e32 v69, v81, v73
	v_add_f32_e32 v71, v74, v76
	;; [unrolled: 1-line block ×4, first 2 shown]
	v_fmac_f32_e32 v89, 0x3f737871, v101
	v_fmac_f32_e32 v93, 0xbf737871, v103
	;; [unrolled: 1-line block ×4, first 2 shown]
	ds_write_b128 v68, v[69:72] offset:16
	v_sub_f32_e32 v71, v57, v66
	v_sub_f32_e32 v72, v58, v67
	v_fmac_f32_e32 v89, 0x3f167918, v90
	v_fmac_f32_e32 v93, 0xbf167918, v77
	;; [unrolled: 1-line block ×3, first 2 shown]
	v_mul_f32_e32 v57, 0xbf167918, v94
	v_mul_f32_e32 v58, 0xbf4f1bbd, v94
	v_fmac_f32_e32 v89, 0x3e9e377a, v85
	v_fmac_f32_e32 v93, 0x3e9e377a, v86
	;; [unrolled: 1-line block ×4, first 2 shown]
	v_add_f32_e32 v69, v89, v57
	v_add_f32_e32 v70, v93, v58
	ds_write_b128 v68, v[69:72] offset:32
	v_sub_f32_e32 v69, v99, v95
	v_sub_f32_e32 v71, v81, v73
	v_sub_f32_e32 v70, v100, v97
	v_sub_f32_e32 v72, v78, v82
	ds_write_b128 v68, v[69:72] offset:48
	v_sub_f32_e32 v69, v74, v76
	v_sub_f32_e32 v71, v89, v57
	;; [unrolled: 1-line block ×4, first 2 shown]
	ds_write_b128 v68, v[69:72] offset:64
	s_waitcnt lgkmcnt(0)
	s_barrier
	ds_read2_b64 v[66:69], v60 offset0:32 offset1:132
	s_waitcnt lgkmcnt(0)
	v_mul_f32_e32 v57, v54, v69
	v_mul_f32_e32 v54, v54, v68
	v_fmac_f32_e32 v57, v53, v68
	v_fma_f32 v53, v53, v69, -v54
	ds_read2_b64 v[68:71], v62 offset0:88 offset1:188
	v_mul_f32_e32 v54, v15, v67
	v_fmac_f32_e32 v54, v14, v66
	v_mul_f32_e32 v15, v15, v66
	v_fma_f32 v58, v14, v67, -v15
	s_waitcnt lgkmcnt(0)
	v_mul_f32_e32 v66, v13, v71
	v_mul_f32_e32 v13, v13, v70
	v_fmac_f32_e32 v66, v12, v70
	v_fma_f32 v67, v12, v71, -v13
	ds_read2_b64 v[12:15], v63 offset0:144 offset1:244
	v_mul_f32_e32 v70, v11, v69
	v_mul_f32_e32 v11, v11, v68
	v_fmac_f32_e32 v70, v10, v68
	v_fma_f32 v68, v10, v69, -v11
	s_waitcnt lgkmcnt(0)
	v_mul_f32_e32 v69, v9, v15
	v_mul_f32_e32 v9, v9, v14
	v_fmac_f32_e32 v69, v8, v14
	v_fma_f32 v14, v8, v15, -v9
	ds_read2_b64 v[8:11], v64 offset0:72 offset1:172
	v_mul_f32_e32 v15, v7, v13
	v_mul_f32_e32 v7, v7, v12
	v_fmac_f32_e32 v15, v6, v12
	v_fma_f32 v12, v6, v13, -v7
	s_waitcnt lgkmcnt(0)
	v_mul_f32_e32 v13, v5, v11
	v_mul_f32_e32 v5, v5, v10
	v_fmac_f32_e32 v13, v4, v10
	v_fma_f32 v10, v4, v11, -v5
	ds_read2_b64 v[4:7], v61 offset1:100
	v_mul_f32_e32 v11, v3, v9
	v_mul_f32_e32 v3, v3, v8
	v_fmac_f32_e32 v11, v2, v8
	v_fma_f32 v8, v2, v9, -v3
	s_waitcnt lgkmcnt(0)
	v_mul_f32_e32 v9, v1, v7
	v_mul_f32_e32 v1, v1, v6
	v_fmac_f32_e32 v9, v0, v6
	v_fma_f32 v6, v0, v7, -v1
	v_add_f32_e32 v0, v15, v70
	v_fma_f32 v71, -0.5, v0, v4
	v_add_f32_e32 v0, v11, v54
	v_fma_f32 v7, -0.5, v0, v4
	;; [unrolled: 2-line block ×4, first 2 shown]
	v_add_f32_e32 v0, v4, v11
	v_sub_f32_e32 v2, v11, v15
	v_sub_f32_e32 v3, v54, v70
	v_add_f32_e32 v74, v2, v3
	v_sub_f32_e32 v2, v8, v12
	v_sub_f32_e32 v3, v58, v68
	v_add_f32_e32 v0, v0, v15
	v_add_f32_e32 v1, v5, v8
	;; [unrolled: 1-line block ×3, first 2 shown]
	v_sub_f32_e32 v2, v13, v69
	v_sub_f32_e32 v3, v57, v66
	v_add_f32_e32 v0, v0, v70
	v_add_f32_e32 v76, v2, v3
	v_sub_f32_e32 v2, v10, v14
	v_sub_f32_e32 v3, v53, v67
	v_add_f32_e32 v84, v0, v54
	v_add_f32_e32 v0, v1, v12
	;; [unrolled: 1-line block ×6, first 2 shown]
	v_fma_f32 v81, -0.5, v3, v6
	v_add_f32_e32 v88, v0, v58
	v_add_f32_e32 v0, v9, v13
	v_fma_f32 v78, -0.5, v2, v9
	v_sub_f32_e32 v82, v13, v57
	v_mov_b32_e32 v3, v81
	v_add_f32_e32 v0, v0, v69
	v_sub_f32_e32 v79, v10, v53
	v_mov_b32_e32 v2, v78
	v_fmac_f32_e32 v3, 0x3f737871, v82
	v_sub_f32_e32 v83, v69, v66
	v_add_f32_e32 v0, v0, v66
	v_fmac_f32_e32 v2, 0xbf737871, v79
	v_sub_f32_e32 v80, v14, v67
	v_fmac_f32_e32 v3, 0x3f167918, v83
	v_sub_f32_e32 v85, v8, v58
	v_mov_b32_e32 v86, v71
	v_sub_f32_e32 v89, v11, v54
	v_mov_b32_e32 v90, v72
	v_add_f32_e32 v92, v0, v57
	v_add_f32_e32 v0, v6, v10
	v_fmac_f32_e32 v2, 0xbf167918, v80
	v_fmac_f32_e32 v3, 0x3e9e377a, v77
	;; [unrolled: 1-line block ×3, first 2 shown]
	v_sub_f32_e32 v87, v12, v68
	v_fmac_f32_e32 v90, 0x3f737871, v89
	v_sub_f32_e32 v91, v15, v70
	v_add_f32_e32 v0, v0, v14
	v_fmac_f32_e32 v2, 0x3e9e377a, v76
	v_mul_f32_e32 v4, 0xbf167918, v3
	v_mul_f32_e32 v5, 0x3f4f1bbd, v3
	v_fmac_f32_e32 v86, 0xbf167918, v87
	v_fmac_f32_e32 v90, 0x3f167918, v91
	v_add_f32_e32 v0, v0, v67
	v_fmac_f32_e32 v4, 0x3f4f1bbd, v2
	v_fmac_f32_e32 v5, 0x3f167918, v2
	;; [unrolled: 1-line block ×4, first 2 shown]
	v_add_f32_e32 v93, v0, v53
	v_add_f32_e32 v0, v84, v92
	;; [unrolled: 1-line block ×5, first 2 shown]
	s_barrier
	ds_write2_b64 v65, v[0:1], v[2:3] offset1:10
	v_sub_f32_e32 v0, v15, v11
	v_mov_b32_e32 v11, v7
	v_sub_f32_e32 v1, v70, v54
	v_fmac_f32_e32 v11, 0x3f737871, v87
	v_fmac_f32_e32 v7, 0xbf737871, v87
	v_add_f32_e32 v0, v0, v1
	v_fmac_f32_e32 v11, 0xbf167918, v85
	v_fmac_f32_e32 v7, 0x3f167918, v85
	;; [unrolled: 1-line block ×4, first 2 shown]
	v_sub_f32_e32 v0, v12, v8
	v_mov_b32_e32 v8, v73
	v_sub_f32_e32 v1, v68, v58
	v_fmac_f32_e32 v8, 0xbf737871, v91
	v_fmac_f32_e32 v73, 0x3f737871, v91
	v_add_f32_e32 v0, v0, v1
	v_fmac_f32_e32 v8, 0x3f167918, v89
	v_fmac_f32_e32 v73, 0xbf167918, v89
	;; [unrolled: 1-line block ×4, first 2 shown]
	v_add_f32_e32 v0, v13, v57
	v_fmac_f32_e32 v9, -0.5, v0
	v_sub_f32_e32 v0, v69, v13
	v_sub_f32_e32 v1, v66, v57
	v_add_f32_e32 v0, v0, v1
	v_mov_b32_e32 v1, v9
	v_fmac_f32_e32 v1, 0x3f737871, v80
	v_fmac_f32_e32 v9, 0xbf737871, v80
	;; [unrolled: 1-line block ×6, first 2 shown]
	v_add_f32_e32 v0, v10, v53
	v_fmac_f32_e32 v6, -0.5, v0
	v_sub_f32_e32 v0, v14, v10
	v_sub_f32_e32 v2, v67, v53
	v_add_f32_e32 v0, v0, v2
	v_mov_b32_e32 v2, v6
	v_fmac_f32_e32 v2, 0xbf737871, v83
	v_fmac_f32_e32 v6, 0x3f737871, v83
	;; [unrolled: 1-line block ×6, first 2 shown]
	v_mul_f32_e32 v10, 0xbf737871, v2
	v_mul_f32_e32 v12, 0x3e9e377a, v2
	;; [unrolled: 1-line block ×4, first 2 shown]
	v_fmac_f32_e32 v81, 0xbf737871, v82
	v_fmac_f32_e32 v10, 0x3e9e377a, v1
	;; [unrolled: 1-line block ×7, first 2 shown]
	v_add_f32_e32 v0, v11, v10
	v_add_f32_e32 v1, v8, v12
	v_add_f32_e32 v2, v7, v13
	v_add_f32_e32 v3, v73, v14
	v_fmac_f32_e32 v71, 0x3f737871, v85
	v_fmac_f32_e32 v72, 0xbf737871, v89
	v_fmac_f32_e32 v78, 0x3f167918, v80
	v_fmac_f32_e32 v81, 0x3e9e377a, v77
	ds_write2_b64 v65, v[0:1], v[2:3] offset0:20 offset1:30
	v_sub_f32_e32 v2, v86, v4
	v_sub_f32_e32 v4, v11, v10
	v_fmac_f32_e32 v71, 0x3f167918, v87
	v_fmac_f32_e32 v72, 0xbf167918, v91
	;; [unrolled: 1-line block ×3, first 2 shown]
	v_mul_f32_e32 v10, 0xbf167918, v81
	v_mul_f32_e32 v11, 0xbf4f1bbd, v81
	v_fmac_f32_e32 v71, 0x3e9e377a, v74
	v_fmac_f32_e32 v72, 0x3e9e377a, v75
	;; [unrolled: 1-line block ×4, first 2 shown]
	v_sub_f32_e32 v0, v84, v92
	v_sub_f32_e32 v1, v88, v93
	v_sub_f32_e32 v3, v90, v5
	v_sub_f32_e32 v5, v8, v12
	v_sub_f32_e32 v6, v7, v13
	v_sub_f32_e32 v7, v73, v14
	v_add_f32_e32 v8, v71, v10
	v_add_f32_e32 v9, v72, v11
	v_sub_f32_e32 v10, v71, v10
	v_sub_f32_e32 v11, v72, v11
	ds_write2_b64 v65, v[8:9], v[0:1] offset0:40 offset1:50
	ds_write2_b64 v65, v[2:3], v[4:5] offset0:60 offset1:70
	;; [unrolled: 1-line block ×3, first 2 shown]
	s_waitcnt lgkmcnt(0)
	s_barrier
	ds_read2_b64 v[0:3], v61 offset1:100
	ds_read2_b64 v[4:7], v64 offset0:72 offset1:172
	s_waitcnt lgkmcnt(1)
	v_mul_f32_e32 v10, v17, v3
	v_fmac_f32_e32 v10, v16, v2
	v_mul_f32_e32 v2, v17, v2
	v_fma_f32 v11, v16, v3, -v2
	s_waitcnt lgkmcnt(0)
	v_mul_f32_e32 v12, v19, v5
	v_mul_f32_e32 v2, v19, v4
	v_fmac_f32_e32 v12, v18, v4
	v_fma_f32 v13, v18, v5, -v2
	ds_read2_b64 v[2:5], v63 offset0:144 offset1:244
	v_mul_f32_e32 v14, v21, v7
	v_fmac_f32_e32 v14, v20, v6
	v_mul_f32_e32 v6, v21, v6
	v_fma_f32 v15, v20, v7, -v6
	ds_read2_b64 v[6:9], v62 offset0:88 offset1:188
	s_waitcnt lgkmcnt(1)
	v_mul_f32_e32 v16, v23, v3
	v_fmac_f32_e32 v16, v22, v2
	v_mul_f32_e32 v2, v23, v2
	v_fma_f32 v17, v22, v3, -v2
	v_mul_f32_e32 v2, v29, v4
	v_mul_f32_e32 v18, v29, v5
	v_fma_f32 v19, v28, v5, -v2
	s_waitcnt lgkmcnt(0)
	v_mul_f32_e32 v2, v31, v6
	v_fmac_f32_e32 v18, v28, v4
	v_fma_f32 v21, v30, v7, -v2
	ds_read2_b64 v[2:5], v60 offset0:32 offset1:132
	v_mul_f32_e32 v20, v31, v7
	v_fmac_f32_e32 v20, v30, v6
	v_mul_f32_e32 v22, v25, v9
	v_mul_f32_e32 v6, v25, v8
	v_fmac_f32_e32 v22, v24, v8
	v_fma_f32 v8, v24, v9, -v6
	s_waitcnt lgkmcnt(0)
	v_mul_f32_e32 v9, v27, v3
	v_fmac_f32_e32 v9, v26, v2
	v_mul_f32_e32 v2, v27, v2
	v_fma_f32 v2, v26, v3, -v2
	v_mul_f32_e32 v3, v56, v5
	v_fmac_f32_e32 v3, v55, v4
	v_mul_f32_e32 v4, v56, v4
	v_fma_f32 v4, v55, v5, -v4
	v_add_f32_e32 v5, v0, v12
	v_add_f32_e32 v5, v5, v16
	;; [unrolled: 1-line block ×5, first 2 shown]
	v_fma_f32 v24, -0.5, v5, v0
	v_sub_f32_e32 v5, v13, v2
	v_mov_b32_e32 v25, v24
	v_fmac_f32_e32 v25, 0xbf737871, v5
	v_sub_f32_e32 v26, v17, v21
	v_sub_f32_e32 v27, v12, v16
	;; [unrolled: 1-line block ×3, first 2 shown]
	v_fmac_f32_e32 v24, 0x3f737871, v5
	v_fmac_f32_e32 v25, 0xbf167918, v26
	v_add_f32_e32 v27, v27, v28
	v_fmac_f32_e32 v24, 0x3f167918, v26
	v_fmac_f32_e32 v25, 0x3e9e377a, v27
	v_fmac_f32_e32 v24, 0x3e9e377a, v27
	v_add_f32_e32 v27, v12, v9
	v_fma_f32 v27, -0.5, v27, v0
	v_sub_f32_e32 v0, v16, v12
	v_sub_f32_e32 v28, v20, v9
	v_add_f32_e32 v0, v0, v28
	v_mov_b32_e32 v28, v27
	v_fmac_f32_e32 v28, 0x3f737871, v26
	v_fmac_f32_e32 v27, 0xbf737871, v26
	;; [unrolled: 1-line block ×6, first 2 shown]
	v_add_f32_e32 v0, v1, v13
	v_add_f32_e32 v0, v0, v17
	v_add_f32_e32 v0, v0, v21
	v_add_f32_e32 v26, v0, v2
	v_add_f32_e32 v0, v17, v21
	v_fma_f32 v29, -0.5, v0, v1
	v_sub_f32_e32 v0, v12, v9
	v_mov_b32_e32 v30, v29
	v_fmac_f32_e32 v30, 0x3f737871, v0
	v_sub_f32_e32 v5, v16, v20
	v_sub_f32_e32 v9, v13, v17
	;; [unrolled: 1-line block ×3, first 2 shown]
	v_fmac_f32_e32 v29, 0xbf737871, v0
	v_fmac_f32_e32 v30, 0x3f167918, v5
	v_add_f32_e32 v9, v9, v12
	v_fmac_f32_e32 v29, 0xbf167918, v5
	v_fmac_f32_e32 v30, 0x3e9e377a, v9
	;; [unrolled: 1-line block ×3, first 2 shown]
	v_add_f32_e32 v9, v13, v2
	v_fma_f32 v31, -0.5, v9, v1
	v_mov_b32_e32 v53, v31
	v_fmac_f32_e32 v53, 0xbf737871, v5
	v_fmac_f32_e32 v31, 0x3f737871, v5
	;; [unrolled: 1-line block ×4, first 2 shown]
	v_add_f32_e32 v0, v10, v14
	v_add_f32_e32 v0, v0, v18
	v_sub_f32_e32 v1, v17, v13
	v_sub_f32_e32 v2, v21, v2
	v_add_f32_e32 v0, v0, v22
	v_add_f32_e32 v1, v1, v2
	;; [unrolled: 1-line block ×4, first 2 shown]
	v_fmac_f32_e32 v53, 0x3e9e377a, v1
	v_fmac_f32_e32 v31, 0x3e9e377a, v1
	v_fma_f32 v1, -0.5, v0, v10
	v_sub_f32_e32 v0, v15, v4
	v_mov_b32_e32 v5, v1
	v_fmac_f32_e32 v5, 0xbf737871, v0
	v_sub_f32_e32 v2, v19, v8
	v_sub_f32_e32 v9, v14, v18
	;; [unrolled: 1-line block ×3, first 2 shown]
	v_fmac_f32_e32 v1, 0x3f737871, v0
	v_fmac_f32_e32 v5, 0xbf167918, v2
	v_add_f32_e32 v9, v9, v13
	v_fmac_f32_e32 v1, 0x3f167918, v2
	v_fmac_f32_e32 v5, 0x3e9e377a, v9
	;; [unrolled: 1-line block ×3, first 2 shown]
	v_add_f32_e32 v9, v14, v3
	v_fmac_f32_e32 v10, -0.5, v9
	v_mov_b32_e32 v9, v10
	v_fmac_f32_e32 v9, 0x3f737871, v2
	v_fmac_f32_e32 v10, 0xbf737871, v2
	;; [unrolled: 1-line block ×4, first 2 shown]
	v_add_f32_e32 v0, v11, v15
	v_sub_f32_e32 v13, v18, v14
	v_sub_f32_e32 v16, v22, v3
	v_add_f32_e32 v0, v0, v19
	v_add_f32_e32 v13, v13, v16
	;; [unrolled: 1-line block ×3, first 2 shown]
	v_fmac_f32_e32 v9, 0x3e9e377a, v13
	v_fmac_f32_e32 v10, 0x3e9e377a, v13
	v_add_f32_e32 v13, v0, v4
	v_add_f32_e32 v0, v19, v8
	v_fma_f32 v16, -0.5, v0, v11
	v_sub_f32_e32 v0, v14, v3
	v_mov_b32_e32 v3, v16
	v_fmac_f32_e32 v3, 0x3f737871, v0
	v_sub_f32_e32 v2, v18, v22
	v_sub_f32_e32 v14, v15, v19
	;; [unrolled: 1-line block ×3, first 2 shown]
	v_fmac_f32_e32 v16, 0xbf737871, v0
	v_fmac_f32_e32 v3, 0x3f167918, v2
	v_add_f32_e32 v14, v14, v17
	v_fmac_f32_e32 v16, 0xbf167918, v2
	v_fmac_f32_e32 v3, 0x3e9e377a, v14
	;; [unrolled: 1-line block ×3, first 2 shown]
	v_add_f32_e32 v14, v15, v4
	v_fmac_f32_e32 v11, -0.5, v14
	v_mov_b32_e32 v14, v11
	v_fmac_f32_e32 v14, 0xbf737871, v2
	v_sub_f32_e32 v15, v19, v15
	v_sub_f32_e32 v4, v8, v4
	v_fmac_f32_e32 v11, 0x3f737871, v2
	v_fmac_f32_e32 v14, 0x3f167918, v0
	v_add_f32_e32 v4, v15, v4
	v_fmac_f32_e32 v11, 0xbf167918, v0
	v_fmac_f32_e32 v14, 0x3e9e377a, v4
	;; [unrolled: 1-line block ×3, first 2 shown]
	v_mul_f32_e32 v15, 0xbf167918, v3
	v_mul_f32_e32 v19, 0x3f4f1bbd, v3
	v_fmac_f32_e32 v15, 0x3f4f1bbd, v5
	v_mul_f32_e32 v17, 0xbf737871, v14
	v_mul_f32_e32 v18, 0xbf737871, v11
	v_fmac_f32_e32 v19, 0x3f167918, v5
	v_mul_f32_e32 v21, 0x3e9e377a, v14
	v_mul_f32_e32 v20, 0xbf167918, v16
	v_mul_f32_e32 v22, 0xbe9e377a, v11
	v_mul_f32_e32 v54, 0xbf4f1bbd, v16
	v_add_f32_e32 v0, v23, v12
	v_add_f32_e32 v2, v25, v15
	v_fmac_f32_e32 v17, 0x3e9e377a, v9
	v_fmac_f32_e32 v18, 0xbe9e377a, v10
	v_fmac_f32_e32 v21, 0x3f737871, v9
	v_fmac_f32_e32 v20, 0xbf4f1bbd, v1
	v_fmac_f32_e32 v22, 0x3f737871, v10
	v_fmac_f32_e32 v54, 0x3f167918, v1
	v_add_f32_e32 v1, v26, v13
	v_add_f32_e32 v3, v30, v19
	;; [unrolled: 1-line block ×8, first 2 shown]
	v_sub_f32_e32 v12, v23, v12
	v_sub_f32_e32 v14, v25, v15
	;; [unrolled: 1-line block ×10, first 2 shown]
	ds_write2_b64 v61, v[0:1], v[2:3] offset1:100
	ds_write2_b64 v64, v[4:5], v[8:9] offset0:72 offset1:172
	ds_write2_b64 v63, v[10:11], v[12:13] offset0:144 offset1:244
	;; [unrolled: 1-line block ×4, first 2 shown]
	s_waitcnt lgkmcnt(0)
	s_barrier
	ds_read2_b64 v[0:3], v61 offset1:100
	v_mad_u64_u32 v[6:7], s[6:7], s2, v36, 0
	s_load_dwordx2 s[6:7], s[4:5], 0x38
	s_mov_b32 s4, 0xd2f1a9fc
	s_waitcnt lgkmcnt(0)
	v_mul_f32_e32 v5, v52, v1
	v_fmac_f32_e32 v5, v51, v0
	v_mul_f32_e32 v0, v52, v0
	v_fma_f32 v0, v51, v1, -v0
	v_cvt_f64_f32_e32 v[0:1], v0
	s_mov_b32 s5, 0x3f50624d
	v_mov_b32_e32 v4, v7
	v_cvt_f64_f32_e32 v[7:8], v5
	v_mul_f64 v[0:1], v[0:1], s[4:5]
	v_mad_u64_u32 v[10:11], s[8:9], s0, v59, 0
	v_mad_u64_u32 v[4:5], s[2:3], s3, v36, v[4:5]
	v_mul_f64 v[8:9], v[7:8], s[4:5]
	v_mov_b32_e32 v5, v11
	v_mov_b32_e32 v7, v4
	v_mad_u64_u32 v[11:12], s[2:3], s1, v59, v[5:6]
	v_cvt_f32_f64_e32 v5, v[0:1]
	v_lshlrev_b64 v[0:1], 3, v[6:7]
	v_mul_f32_e32 v6, v50, v3
	v_fmac_f32_e32 v6, v49, v2
	v_cvt_f64_f32_e32 v[6:7], v6
	v_mul_f32_e32 v2, v50, v2
	v_fma_f32 v2, v49, v3, -v2
	v_cvt_f32_f64_e32 v4, v[8:9]
	v_mov_b32_e32 v8, s7
	v_cvt_f64_f32_e32 v[2:3], v2
	v_add_co_u32_e32 v12, vcc, s6, v0
	v_addc_co_u32_e32 v13, vcc, v8, v1, vcc
	v_lshlrev_b64 v[0:1], 3, v[10:11]
	v_mul_f64 v[6:7], v[6:7], s[4:5]
	v_add_co_u32_e32 v10, vcc, v12, v0
	v_mul_f64 v[8:9], v[2:3], s[4:5]
	v_addc_co_u32_e32 v11, vcc, v13, v1, vcc
	ds_read2_b64 v[0:3], v64 offset0:72 offset1:172
	global_store_dwordx2 v[10:11], v[4:5], off
	v_cvt_f32_f64_e32 v4, v[6:7]
	s_mulk_i32 s1, 0x320
	s_mul_hi_u32 s2, s0, 0x320
	s_waitcnt lgkmcnt(0)
	v_mul_f32_e32 v6, v48, v1
	v_fmac_f32_e32 v6, v47, v0
	v_mul_f32_e32 v0, v48, v0
	v_fma_f32 v0, v47, v1, -v0
	v_cvt_f64_f32_e32 v[6:7], v6
	v_cvt_f64_f32_e32 v[0:1], v0
	v_cvt_f32_f64_e32 v5, v[8:9]
	s_add_i32 s1, s2, s1
	s_mulk_i32 s0, 0x320
	v_mov_b32_e32 v9, s1
	v_add_co_u32_e32 v8, vcc, s0, v10
	v_mul_f64 v[6:7], v[6:7], s[4:5]
	v_addc_co_u32_e32 v9, vcc, v11, v9, vcc
	v_mul_f64 v[0:1], v[0:1], s[4:5]
	global_store_dwordx2 v[8:9], v[4:5], off
	v_mul_f32_e32 v5, v44, v3
	v_fmac_f32_e32 v5, v43, v2
	v_mul_f32_e32 v2, v44, v2
	v_fma_f32 v2, v43, v3, -v2
	v_cvt_f64_f32_e32 v[2:3], v2
	v_cvt_f32_f64_e32 v4, v[6:7]
	v_cvt_f64_f32_e32 v[6:7], v5
	v_cvt_f32_f64_e32 v5, v[0:1]
	v_mul_f64 v[10:11], v[2:3], s[4:5]
	ds_read2_b64 v[0:3], v63 offset0:144 offset1:244
	v_mov_b32_e32 v12, s1
	v_add_co_u32_e32 v8, vcc, s0, v8
	v_addc_co_u32_e32 v9, vcc, v9, v12, vcc
	global_store_dwordx2 v[8:9], v[4:5], off
	s_waitcnt lgkmcnt(0)
	v_mul_f32_e32 v4, v46, v1
	v_fmac_f32_e32 v4, v45, v0
	v_cvt_f64_f32_e32 v[4:5], v4
	v_mul_f32_e32 v0, v46, v0
	v_fma_f32 v0, v45, v1, -v0
	v_mul_f64 v[6:7], v[6:7], s[4:5]
	v_mul_f64 v[4:5], v[4:5], s[4:5]
	v_cvt_f64_f32_e32 v[0:1], v0
	v_add_co_u32_e32 v8, vcc, s0, v8
	v_mul_f64 v[0:1], v[0:1], s[4:5]
	v_cvt_f32_f64_e32 v6, v[6:7]
	v_cvt_f32_f64_e32 v4, v[4:5]
	v_mul_f32_e32 v5, v40, v3
	v_fmac_f32_e32 v5, v39, v2
	v_mul_f32_e32 v2, v40, v2
	v_fma_f32 v2, v39, v3, -v2
	v_cvt_f32_f64_e32 v7, v[10:11]
	v_cvt_f64_f32_e32 v[2:3], v2
	v_mov_b32_e32 v10, s1
	v_addc_co_u32_e32 v9, vcc, v9, v10, vcc
	global_store_dwordx2 v[8:9], v[6:7], off
	v_cvt_f64_f32_e32 v[6:7], v5
	v_cvt_f32_f64_e32 v5, v[0:1]
	v_mul_f64 v[10:11], v[2:3], s[4:5]
	ds_read2_b64 v[0:3], v62 offset0:88 offset1:188
	v_add_co_u32_e32 v8, vcc, s0, v8
	v_addc_co_u32_e32 v9, vcc, v9, v12, vcc
	global_store_dwordx2 v[8:9], v[4:5], off
	s_waitcnt lgkmcnt(0)
	v_mul_f32_e32 v4, v42, v1
	v_fmac_f32_e32 v4, v41, v0
	v_cvt_f64_f32_e32 v[4:5], v4
	v_mul_f64 v[6:7], v[6:7], s[4:5]
	v_mul_f32_e32 v0, v42, v0
	v_fma_f32 v0, v41, v1, -v0
	v_mul_f64 v[4:5], v[4:5], s[4:5]
	v_cvt_f64_f32_e32 v[0:1], v0
	v_add_co_u32_e32 v8, vcc, s0, v8
	v_cvt_f32_f64_e32 v6, v[6:7]
	v_cvt_f32_f64_e32 v7, v[10:11]
	v_mov_b32_e32 v10, s1
	v_mul_f64 v[0:1], v[0:1], s[4:5]
	v_cvt_f32_f64_e32 v4, v[4:5]
	v_mul_f32_e32 v5, v38, v3
	v_addc_co_u32_e32 v9, vcc, v9, v10, vcc
	v_fmac_f32_e32 v5, v37, v2
	global_store_dwordx2 v[8:9], v[6:7], off
	v_cvt_f64_f32_e32 v[6:7], v5
	v_mul_f32_e32 v2, v38, v2
	v_fma_f32 v2, v37, v3, -v2
	v_cvt_f64_f32_e32 v[2:3], v2
	v_mul_f64 v[6:7], v[6:7], s[4:5]
	v_cvt_f32_f64_e32 v5, v[0:1]
	v_mov_b32_e32 v0, s1
	v_add_co_u32_e32 v8, vcc, s0, v8
	v_mul_f64 v[10:11], v[2:3], s[4:5]
	v_addc_co_u32_e32 v9, vcc, v9, v0, vcc
	ds_read2_b64 v[0:3], v60 offset0:32 offset1:132
	global_store_dwordx2 v[8:9], v[4:5], off
	v_cvt_f32_f64_e32 v4, v[6:7]
	v_add_co_u32_e32 v8, vcc, s0, v8
	s_waitcnt lgkmcnt(0)
	v_mul_f32_e32 v6, v35, v1
	v_fmac_f32_e32 v6, v34, v0
	v_mul_f32_e32 v0, v35, v0
	v_fma_f32 v0, v34, v1, -v0
	v_cvt_f32_f64_e32 v5, v[10:11]
	v_cvt_f64_f32_e32 v[6:7], v6
	v_cvt_f64_f32_e32 v[0:1], v0
	v_mov_b32_e32 v10, s1
	v_addc_co_u32_e32 v9, vcc, v9, v10, vcc
	global_store_dwordx2 v[8:9], v[4:5], off
	v_mul_f64 v[4:5], v[6:7], s[4:5]
	v_mul_f64 v[0:1], v[0:1], s[4:5]
	v_mul_f32_e32 v6, v33, v3
	v_fmac_f32_e32 v6, v32, v2
	v_mul_f32_e32 v2, v33, v2
	v_fma_f32 v2, v32, v3, -v2
	v_cvt_f64_f32_e32 v[6:7], v6
	v_cvt_f64_f32_e32 v[2:3], v2
	v_cvt_f32_f64_e32 v4, v[4:5]
	v_cvt_f32_f64_e32 v5, v[0:1]
	v_mul_f64 v[0:1], v[6:7], s[4:5]
	v_mul_f64 v[2:3], v[2:3], s[4:5]
	v_mov_b32_e32 v7, s1
	v_add_co_u32_e32 v6, vcc, s0, v8
	v_addc_co_u32_e32 v7, vcc, v9, v7, vcc
	global_store_dwordx2 v[6:7], v[4:5], off
	v_cvt_f32_f64_e32 v0, v[0:1]
	v_cvt_f32_f64_e32 v1, v[2:3]
	v_mov_b32_e32 v3, s1
	v_add_co_u32_e32 v2, vcc, s0, v6
	v_addc_co_u32_e32 v3, vcc, v7, v3, vcc
	global_store_dwordx2 v[2:3], v[0:1], off
.LBB0_2:
	s_endpgm
	.section	.rodata,"a",@progbits
	.p2align	6, 0x0
	.amdhsa_kernel bluestein_single_fwd_len1000_dim1_sp_op_CI_CI
		.amdhsa_group_segment_fixed_size 8000
		.amdhsa_private_segment_fixed_size 0
		.amdhsa_kernarg_size 104
		.amdhsa_user_sgpr_count 6
		.amdhsa_user_sgpr_private_segment_buffer 1
		.amdhsa_user_sgpr_dispatch_ptr 0
		.amdhsa_user_sgpr_queue_ptr 0
		.amdhsa_user_sgpr_kernarg_segment_ptr 1
		.amdhsa_user_sgpr_dispatch_id 0
		.amdhsa_user_sgpr_flat_scratch_init 0
		.amdhsa_user_sgpr_private_segment_size 0
		.amdhsa_uses_dynamic_stack 0
		.amdhsa_system_sgpr_private_segment_wavefront_offset 0
		.amdhsa_system_sgpr_workgroup_id_x 1
		.amdhsa_system_sgpr_workgroup_id_y 0
		.amdhsa_system_sgpr_workgroup_id_z 0
		.amdhsa_system_sgpr_workgroup_info 0
		.amdhsa_system_vgpr_workitem_id 0
		.amdhsa_next_free_vgpr 117
		.amdhsa_next_free_sgpr 20
		.amdhsa_reserve_vcc 1
		.amdhsa_reserve_flat_scratch 0
		.amdhsa_float_round_mode_32 0
		.amdhsa_float_round_mode_16_64 0
		.amdhsa_float_denorm_mode_32 3
		.amdhsa_float_denorm_mode_16_64 3
		.amdhsa_dx10_clamp 1
		.amdhsa_ieee_mode 1
		.amdhsa_fp16_overflow 0
		.amdhsa_exception_fp_ieee_invalid_op 0
		.amdhsa_exception_fp_denorm_src 0
		.amdhsa_exception_fp_ieee_div_zero 0
		.amdhsa_exception_fp_ieee_overflow 0
		.amdhsa_exception_fp_ieee_underflow 0
		.amdhsa_exception_fp_ieee_inexact 0
		.amdhsa_exception_int_div_zero 0
	.end_amdhsa_kernel
	.text
.Lfunc_end0:
	.size	bluestein_single_fwd_len1000_dim1_sp_op_CI_CI, .Lfunc_end0-bluestein_single_fwd_len1000_dim1_sp_op_CI_CI
                                        ; -- End function
	.section	.AMDGPU.csdata,"",@progbits
; Kernel info:
; codeLenInByte = 9136
; NumSgprs: 24
; NumVgprs: 117
; ScratchSize: 0
; MemoryBound: 0
; FloatMode: 240
; IeeeMode: 1
; LDSByteSize: 8000 bytes/workgroup (compile time only)
; SGPRBlocks: 2
; VGPRBlocks: 29
; NumSGPRsForWavesPerEU: 24
; NumVGPRsForWavesPerEU: 117
; Occupancy: 2
; WaveLimiterHint : 1
; COMPUTE_PGM_RSRC2:SCRATCH_EN: 0
; COMPUTE_PGM_RSRC2:USER_SGPR: 6
; COMPUTE_PGM_RSRC2:TRAP_HANDLER: 0
; COMPUTE_PGM_RSRC2:TGID_X_EN: 1
; COMPUTE_PGM_RSRC2:TGID_Y_EN: 0
; COMPUTE_PGM_RSRC2:TGID_Z_EN: 0
; COMPUTE_PGM_RSRC2:TIDIG_COMP_CNT: 0
	.type	__hip_cuid_cc13c90c1164840,@object ; @__hip_cuid_cc13c90c1164840
	.section	.bss,"aw",@nobits
	.globl	__hip_cuid_cc13c90c1164840
__hip_cuid_cc13c90c1164840:
	.byte	0                               ; 0x0
	.size	__hip_cuid_cc13c90c1164840, 1

	.ident	"AMD clang version 19.0.0git (https://github.com/RadeonOpenCompute/llvm-project roc-6.4.0 25133 c7fe45cf4b819c5991fe208aaa96edf142730f1d)"
	.section	".note.GNU-stack","",@progbits
	.addrsig
	.addrsig_sym __hip_cuid_cc13c90c1164840
	.amdgpu_metadata
---
amdhsa.kernels:
  - .args:
      - .actual_access:  read_only
        .address_space:  global
        .offset:         0
        .size:           8
        .value_kind:     global_buffer
      - .actual_access:  read_only
        .address_space:  global
        .offset:         8
        .size:           8
        .value_kind:     global_buffer
      - .actual_access:  read_only
        .address_space:  global
        .offset:         16
        .size:           8
        .value_kind:     global_buffer
      - .actual_access:  read_only
        .address_space:  global
        .offset:         24
        .size:           8
        .value_kind:     global_buffer
      - .actual_access:  read_only
        .address_space:  global
        .offset:         32
        .size:           8
        .value_kind:     global_buffer
      - .offset:         40
        .size:           8
        .value_kind:     by_value
      - .address_space:  global
        .offset:         48
        .size:           8
        .value_kind:     global_buffer
      - .address_space:  global
        .offset:         56
        .size:           8
        .value_kind:     global_buffer
      - .address_space:  global
        .offset:         64
        .size:           8
        .value_kind:     global_buffer
      - .address_space:  global
        .offset:         72
        .size:           8
        .value_kind:     global_buffer
      - .offset:         80
        .size:           4
        .value_kind:     by_value
      - .address_space:  global
        .offset:         88
        .size:           8
        .value_kind:     global_buffer
      - .address_space:  global
        .offset:         96
        .size:           8
        .value_kind:     global_buffer
    .group_segment_fixed_size: 8000
    .kernarg_segment_align: 8
    .kernarg_segment_size: 104
    .language:       OpenCL C
    .language_version:
      - 2
      - 0
    .max_flat_workgroup_size: 100
    .name:           bluestein_single_fwd_len1000_dim1_sp_op_CI_CI
    .private_segment_fixed_size: 0
    .sgpr_count:     24
    .sgpr_spill_count: 0
    .symbol:         bluestein_single_fwd_len1000_dim1_sp_op_CI_CI.kd
    .uniform_work_group_size: 1
    .uses_dynamic_stack: false
    .vgpr_count:     117
    .vgpr_spill_count: 0
    .wavefront_size: 64
amdhsa.target:   amdgcn-amd-amdhsa--gfx906
amdhsa.version:
  - 1
  - 2
...

	.end_amdgpu_metadata
